;; amdgpu-corpus repo=ROCm/rocFFT kind=compiled arch=gfx950 opt=O3
	.text
	.amdgcn_target "amdgcn-amd-amdhsa--gfx950"
	.amdhsa_code_object_version 6
	.protected	fft_rtc_fwd_len200_factors_2_4_5_5_wgs_320_tpt_20_dim3_sp_ip_CI_sbcc_twdbase8_2step_dirReg_intrinsicReadWrite ; -- Begin function fft_rtc_fwd_len200_factors_2_4_5_5_wgs_320_tpt_20_dim3_sp_ip_CI_sbcc_twdbase8_2step_dirReg_intrinsicReadWrite
	.globl	fft_rtc_fwd_len200_factors_2_4_5_5_wgs_320_tpt_20_dim3_sp_ip_CI_sbcc_twdbase8_2step_dirReg_intrinsicReadWrite
	.p2align	8
	.type	fft_rtc_fwd_len200_factors_2_4_5_5_wgs_320_tpt_20_dim3_sp_ip_CI_sbcc_twdbase8_2step_dirReg_intrinsicReadWrite,@function
fft_rtc_fwd_len200_factors_2_4_5_5_wgs_320_tpt_20_dim3_sp_ip_CI_sbcc_twdbase8_2step_dirReg_intrinsicReadWrite: ; @fft_rtc_fwd_len200_factors_2_4_5_5_wgs_320_tpt_20_dim3_sp_ip_CI_sbcc_twdbase8_2step_dirReg_intrinsicReadWrite
; %bb.0:
	s_load_dwordx4 s[4:7], s[0:1], 0x10
	s_mov_b32 s3, 0
	s_mov_b64 s[16:17], 0
	s_waitcnt lgkmcnt(0)
	s_load_dwordx2 s[10:11], s[4:5], 0x8
	s_waitcnt lgkmcnt(0)
	s_add_u32 s8, s10, -1
	s_addc_u32 s9, s11, -1
	s_lshr_b64 s[8:9], s[8:9], 4
	s_add_u32 s14, s8, 1
	s_addc_u32 s15, s9, 0
	v_mov_b64_e32 v[2:3], s[14:15]
	v_cmp_lt_u64_e32 vcc, s[2:3], v[2:3]
	s_cbranch_vccnz .LBB0_2
; %bb.1:
	v_cvt_f32_u32_e32 v1, s14
	s_sub_i32 s8, 0, s14
	s_mov_b32 s17, s3
	v_rcp_iflag_f32_e32 v1, v1
	s_nop 0
	v_mul_f32_e32 v1, 0x4f7ffffe, v1
	v_cvt_u32_f32_e32 v1, v1
	s_nop 0
	v_readfirstlane_b32 s9, v1
	s_mul_i32 s8, s8, s9
	s_mul_hi_u32 s8, s9, s8
	s_add_i32 s9, s9, s8
	s_mul_hi_u32 s8, s2, s9
	s_mul_i32 s12, s8, s14
	s_sub_i32 s12, s2, s12
	s_add_i32 s9, s8, 1
	s_sub_i32 s13, s12, s14
	s_cmp_ge_u32 s12, s14
	s_cselect_b32 s8, s9, s8
	s_cselect_b32 s12, s13, s12
	s_add_i32 s9, s8, 1
	s_cmp_ge_u32 s12, s14
	s_cselect_b32 s16, s9, s8
.LBB0_2:
	s_load_dwordx2 s[8:9], s[4:5], 0x10
	s_load_dwordx2 s[12:13], s[6:7], 0x8
	s_mov_b64 s[18:19], s[16:17]
	s_waitcnt lgkmcnt(0)
	v_mov_b64_e32 v[2:3], s[8:9]
	v_cmp_lt_u64_e32 vcc, s[16:17], v[2:3]
	s_cbranch_vccnz .LBB0_4
; %bb.3:
	v_cvt_f32_u32_e32 v1, s8
	s_sub_i32 s4, 0, s8
	v_rcp_iflag_f32_e32 v1, v1
	s_nop 0
	v_mul_f32_e32 v1, 0x4f7ffffe, v1
	v_cvt_u32_f32_e32 v1, v1
	s_nop 0
	v_readfirstlane_b32 s5, v1
	s_mul_i32 s4, s4, s5
	s_mul_hi_u32 s4, s5, s4
	s_add_i32 s5, s5, s4
	s_mul_hi_u32 s4, s16, s5
	s_mul_i32 s4, s4, s8
	s_sub_i32 s4, s16, s4
	s_sub_i32 s5, s4, s8
	s_cmp_ge_u32 s4, s8
	s_cselect_b32 s4, s5, s4
	s_sub_i32 s5, s4, s8
	s_cmp_ge_u32 s4, s8
	s_cselect_b32 s18, s5, s4
.LBB0_4:
	s_mul_i32 s17, s8, s15
	s_mul_hi_u32 s19, s8, s14
	s_add_i32 s17, s19, s17
	s_mul_i32 s9, s9, s14
	s_load_dwordx2 s[4:5], s[0:1], 0x50
	s_add_i32 s25, s17, s9
	s_mul_i32 s24, s8, s14
	s_load_dwordx2 s[8:9], s[6:7], 0x0
	s_load_dwordx2 s[20:21], s[6:7], 0x10
	v_mov_b64_e32 v[2:3], s[24:25]
	v_cmp_lt_u64_e32 vcc, s[2:3], v[2:3]
	s_mov_b64 s[22:23], 0
	s_cbranch_vccnz .LBB0_6
; %bb.5:
	v_cvt_f32_u32_e32 v1, s24
	s_sub_i32 s3, 0, s24
	v_rcp_iflag_f32_e32 v1, v1
	s_nop 0
	v_mul_f32_e32 v1, 0x4f7ffffe, v1
	v_cvt_u32_f32_e32 v1, v1
	s_waitcnt lgkmcnt(0)
	v_readfirstlane_b32 s9, v1
	s_mul_i32 s3, s3, s9
	s_mul_hi_u32 s3, s9, s3
	s_add_i32 s9, s9, s3
	s_mul_hi_u32 s3, s2, s9
	s_mul_i32 s17, s3, s24
	s_sub_i32 s17, s2, s17
	s_add_i32 s9, s3, 1
	s_sub_i32 s19, s17, s24
	s_cmp_ge_u32 s17, s24
	s_cselect_b32 s3, s9, s3
	s_cselect_b32 s17, s19, s17
	s_add_i32 s9, s3, 1
	s_cmp_ge_u32 s17, s24
	s_cselect_b32 s22, s9, s3
.LBB0_6:
	s_mul_i32 s3, s16, s15
	s_waitcnt lgkmcnt(0)
	s_mul_hi_u32 s9, s16, s14
	s_add_i32 s9, s9, s3
	s_mul_i32 s3, s16, s14
	s_sub_u32 s2, s2, s3
	s_subb_u32 s3, 0, s9
	v_mov_b32_e32 v1, s2
	s_lshl_b64 s[14:15], s[2:3], 4
	v_alignbit_b32 v1, s3, v1, 28
	v_mul_lo_u32 v1, s12, v1
	s_mul_hi_u32 s2, s12, s14
	v_add_u32_e32 v1, s2, v1
	s_mul_i32 s2, s13, s14
	v_add_u32_e32 v3, s2, v1
	s_mul_i32 s2, s12, s14
	v_mov_b32_e32 v2, s2
	s_load_dwordx2 s[2:3], s[6:7], 0x18
	s_mul_i32 s9, s21, s18
	s_mul_hi_u32 s6, s20, s18
	s_add_i32 s7, s6, s9
	s_mul_i32 s6, s20, s18
	v_lshl_add_u64 v[2:3], s[6:7], 0, v[2:3]
	s_waitcnt lgkmcnt(0)
	s_mul_i32 s3, s3, s22
	s_mul_hi_u32 s6, s2, s22
	s_add_i32 s3, s6, s3
	s_mul_i32 s2, s2, s22
	v_lshl_add_u64 v[18:19], s[2:3], 0, v[2:3]
	s_add_u32 s2, s14, 16
	v_and_b32_e32 v28, 15, v0
	s_addc_u32 s3, s15, 0
	v_mov_b64_e32 v[2:3], s[10:11]
	v_or_b32_e32 v22, s14, v28
	v_mov_b32_e32 v23, s15
	v_cmp_le_u64_e32 vcc, s[2:3], v[2:3]
	v_mad_u64_u32 v[20:21], s[2:3], s12, v28, 0
	v_cmp_gt_u64_e64 s[2:3], s[10:11], v[22:23]
	v_lshrrev_b32_e32 v19, 4, v0
	s_or_b64 s[14:15], vcc, s[2:3]
	v_mov_b32_e32 v4, 0
	v_mov_b32_e32 v2, 0
	;; [unrolled: 1-line block ×3, first 2 shown]
	s_and_saveexec_b64 s[2:3], s[14:15]
	s_cbranch_execz .LBB0_8
; %bb.7:
	v_mul_lo_u32 v1, s8, v19
	v_add3_u32 v2, v18, v20, v1
	v_mov_b32_e32 v3, 0
	v_lshl_add_u64 v[2:3], v[2:3], 3, s[4:5]
	global_load_dwordx2 v[2:3], v[2:3], off
.LBB0_8:
	s_or_b64 exec, exec, s[2:3]
	v_mov_b32_e32 v5, 0
	s_and_saveexec_b64 s[2:3], s[14:15]
	s_cbranch_execz .LBB0_10
; %bb.9:
	v_add_u32_e32 v1, 0x64, v19
	v_mul_lo_u32 v1, s8, v1
	v_add3_u32 v4, v18, v20, v1
	v_mov_b32_e32 v5, 0
	v_lshl_add_u64 v[4:5], v[4:5], 3, s[4:5]
	global_load_dwordx2 v[4:5], v[4:5], off
.LBB0_10:
	s_or_b64 exec, exec, s[2:3]
	v_add_u32_e32 v1, 20, v19
	v_mov_b32_e32 v8, 0
	v_mov_b32_e32 v6, 0
	;; [unrolled: 1-line block ×3, first 2 shown]
	s_and_saveexec_b64 s[2:3], s[14:15]
	s_cbranch_execz .LBB0_12
; %bb.11:
	v_mul_lo_u32 v6, s8, v1
	v_add3_u32 v6, v18, v20, v6
	v_mov_b32_e32 v7, 0
	v_lshl_add_u64 v[6:7], v[6:7], 3, s[4:5]
	global_load_dwordx2 v[6:7], v[6:7], off
.LBB0_12:
	s_or_b64 exec, exec, s[2:3]
	v_mov_b32_e32 v9, 0
	s_and_saveexec_b64 s[2:3], s[14:15]
	s_cbranch_execz .LBB0_14
; %bb.13:
	v_add_u32_e32 v8, 0x78, v19
	v_mul_lo_u32 v8, s8, v8
	v_add3_u32 v8, v18, v20, v8
	v_mov_b32_e32 v9, 0
	v_lshl_add_u64 v[8:9], v[8:9], 3, s[4:5]
	global_load_dwordx2 v[8:9], v[8:9], off
.LBB0_14:
	s_or_b64 exec, exec, s[2:3]
	v_add_u32_e32 v40, 40, v19
	v_mov_b32_e32 v12, 0
	v_mov_b32_e32 v10, 0
	;; [unrolled: 1-line block ×3, first 2 shown]
	s_and_saveexec_b64 s[2:3], s[14:15]
	s_cbranch_execz .LBB0_16
; %bb.15:
	v_mul_lo_u32 v10, s8, v40
	v_add3_u32 v10, v18, v20, v10
	v_mov_b32_e32 v11, 0
	v_lshl_add_u64 v[10:11], v[10:11], 3, s[4:5]
	global_load_dwordx2 v[10:11], v[10:11], off
.LBB0_16:
	s_or_b64 exec, exec, s[2:3]
	v_mov_b32_e32 v13, 0
	s_and_saveexec_b64 s[2:3], s[14:15]
	s_cbranch_execz .LBB0_18
; %bb.17:
	v_add_u32_e32 v12, 0x8c, v19
	v_mul_lo_u32 v12, s8, v12
	v_add3_u32 v12, v18, v20, v12
	v_mov_b32_e32 v13, 0
	v_lshl_add_u64 v[12:13], v[12:13], 3, s[4:5]
	global_load_dwordx2 v[12:13], v[12:13], off
.LBB0_18:
	s_or_b64 exec, exec, s[2:3]
	v_mov_b32_e32 v16, 0
	v_mov_b32_e32 v14, 0
	;; [unrolled: 1-line block ×3, first 2 shown]
	s_and_saveexec_b64 s[2:3], s[14:15]
	s_cbranch_execz .LBB0_20
; %bb.19:
	v_add_u32_e32 v14, 60, v19
	v_mul_lo_u32 v14, s8, v14
	v_add3_u32 v14, v18, v20, v14
	v_mov_b32_e32 v15, 0
	v_lshl_add_u64 v[14:15], v[14:15], 3, s[4:5]
	global_load_dwordx2 v[14:15], v[14:15], off
.LBB0_20:
	s_or_b64 exec, exec, s[2:3]
	v_mov_b32_e32 v17, 0
	s_and_saveexec_b64 s[2:3], s[14:15]
	s_cbranch_execz .LBB0_22
; %bb.21:
	v_add_u32_e32 v16, 0xa0, v19
	v_mul_lo_u32 v16, s8, v16
	v_add3_u32 v16, v18, v20, v16
	v_mov_b32_e32 v17, 0
	v_lshl_add_u64 v[16:17], v[16:17], 3, s[4:5]
	global_load_dwordx2 v[16:17], v[16:17], off
.LBB0_22:
	s_or_b64 exec, exec, s[2:3]
	v_add_u32_e32 v38, 0x50, v19
	v_mov_b32_e32 v26, 0
	v_mov_b32_e32 v24, 0
	;; [unrolled: 1-line block ×3, first 2 shown]
	s_and_saveexec_b64 s[2:3], s[14:15]
	s_cbranch_execz .LBB0_24
; %bb.23:
	v_mul_lo_u32 v21, s8, v38
	v_add3_u32 v24, v18, v20, v21
	v_mov_b32_e32 v25, 0
	v_lshl_add_u64 v[24:25], v[24:25], 3, s[4:5]
	global_load_dwordx2 v[24:25], v[24:25], off
.LBB0_24:
	s_or_b64 exec, exec, s[2:3]
	s_load_dwordx2 s[12:13], s[0:1], 0x0
	v_mov_b32_e32 v27, 0
	s_and_saveexec_b64 s[2:3], s[14:15]
	s_cbranch_execz .LBB0_26
; %bb.25:
	v_add_u32_e32 v21, 0xb4, v19
	v_mul_lo_u32 v21, s8, v21
	v_add3_u32 v26, v18, v20, v21
	v_mov_b32_e32 v27, 0
	v_lshl_add_u64 v[26:27], v[26:27], 3, s[4:5]
	global_load_dwordx2 v[26:27], v[26:27], off
.LBB0_26:
	s_or_b64 exec, exec, s[2:3]
	s_waitcnt vmcnt(0)
	v_pk_add_f32 v[4:5], v[2:3], v[4:5] neg_lo:[0,1] neg_hi:[0,1]
	v_lshlrev_b32_e32 v21, 8, v19
	v_lshlrev_b32_e32 v39, 3, v28
	v_add3_u32 v21, 0, v21, v39
	v_pk_fma_f32 v[2:3], v[2:3], 2.0, v[4:5] op_sel_hi:[1,0,1] neg_lo:[0,0,1] neg_hi:[0,0,1]
	v_pk_add_f32 v[8:9], v[6:7], v[8:9] neg_lo:[0,1] neg_hi:[0,1]
	ds_write2_b64 v21, v[2:3], v[4:5] offset1:16
	v_lshlrev_b32_e32 v2, 8, v1
	v_add3_u32 v23, 0, v2, v39
	v_pk_fma_f32 v[2:3], v[6:7], 2.0, v[8:9] op_sel_hi:[1,0,1] neg_lo:[0,0,1] neg_hi:[0,0,1]
	v_pk_add_f32 v[12:13], v[10:11], v[12:13] neg_lo:[0,1] neg_hi:[0,1]
	ds_write2_b64 v23, v[2:3], v[8:9] offset1:16
	v_lshl_add_u32 v2, v40, 8, 0
	v_pk_add_f32 v[16:17], v[14:15], v[16:17] neg_lo:[0,1] neg_hi:[0,1]
	v_add_u32_e32 v3, v2, v39
	v_pk_fma_f32 v[4:5], v[10:11], 2.0, v[12:13] op_sel_hi:[1,0,1] neg_lo:[0,0,1] neg_hi:[0,0,1]
	ds_write2_b64 v3, v[4:5], v[12:13] offset1:16
	v_pk_fma_f32 v[4:5], v[14:15], 2.0, v[16:17] op_sel_hi:[1,0,1] neg_lo:[0,0,1] neg_hi:[0,0,1]
	v_add_u32_e32 v3, 0x3800, v21
	v_pk_add_f32 v[26:27], v[24:25], v[26:27] neg_lo:[0,1] neg_hi:[0,1]
	ds_write2_b64 v3, v[4:5], v[16:17] offset0:128 offset1:144
	v_lshlrev_b32_e32 v3, 8, v38
	v_pk_fma_f32 v[24:25], v[24:25], 2.0, v[26:27] op_sel_hi:[1,0,1] neg_lo:[0,0,1] neg_hi:[0,0,1]
	v_add3_u32 v3, 0, v3, v39
	ds_write2_b64 v3, v[24:25], v[26:27] offset1:16
	v_lshlrev_b32_e32 v3, 7, v19
	v_sub_u32_e32 v21, v21, v3
	v_add_u32_e32 v3, 0x100, v21
	s_waitcnt lgkmcnt(0)
	s_barrier
	ds_read2st64_b64 v[6:9], v3 offset0:12 offset1:17
	ds_read2st64_b64 v[10:13], v21 offset0:25 offset1:30
	;; [unrolled: 1-line block ×3, first 2 shown]
	v_lshlrev_b32_e32 v3, 7, v1
	v_sub_u32_e32 v23, v23, v3
	ds_read_b64 v[36:37], v21
	ds_read_b64 v[34:35], v23
	s_movk_i32 s2, 0xa0
	v_cmp_gt_u32_e32 vcc, s2, v0
	v_lshlrev_b32_e32 v41, 7, v40
                                        ; implicit-def: $vgpr29
                                        ; implicit-def: $vgpr31
	s_and_saveexec_b64 s[2:3], vcc
	s_cbranch_execz .LBB0_28
; %bb.27:
	v_sub_u32_e32 v2, v2, v41
	v_lshl_add_u32 v2, v28, 3, v2
	ds_read_b64 v[26:27], v21 offset:11520
	ds_read_b64 v[30:31], v21 offset:17920
	ds_read_b64 v[24:25], v2
	ds_read_b64 v[28:29], v21 offset:24320
.LBB0_28:
	s_or_b64 exec, exec, s[2:3]
	v_bfe_u32 v42, v0, 4, 1
	v_mul_u32_u24_e32 v2, 3, v42
	v_lshlrev_b32_e32 v43, 3, v2
	global_load_dwordx4 v[2:5], v43, s[12:13]
	global_load_dwordx2 v[32:33], v43, s[12:13] offset:16
	v_lshlrev_b32_e32 v44, 2, v1
	s_movk_i32 s2, 0x1f8
	v_and_or_b32 v44, v44, s2, v42
	v_lshlrev_b32_e32 v44, 7, v44
	v_add3_u32 v58, 0, v44, v39
	v_lshlrev_b32_e32 v43, 2, v19
	s_movk_i32 s6, 0xf8
	v_and_or_b32 v43, v43, s6, v42
	v_lshlrev_b32_e32 v43, 7, v43
	v_add3_u32 v43, 0, v43, v39
	s_waitcnt lgkmcnt(0)
	s_barrier
	s_waitcnt vmcnt(1)
	v_pk_mul_f32 v[44:45], v[2:3], v[6:7] op_sel:[0,1]
	v_pk_mul_f32 v[46:47], v[4:5], v[10:11] op_sel:[0,1]
	s_waitcnt vmcnt(0)
	v_pk_mul_f32 v[48:49], v[32:33], v[14:15] op_sel:[0,1]
	v_pk_mul_f32 v[50:51], v[2:3], v[8:9] op_sel:[0,1]
	;; [unrolled: 1-line block ×4, first 2 shown]
	v_pk_fma_f32 v[56:57], v[2:3], v[6:7], v[44:45] op_sel:[0,0,1] op_sel_hi:[1,1,0] neg_lo:[0,0,1] neg_hi:[0,0,1]
	v_pk_fma_f32 v[6:7], v[2:3], v[6:7], v[44:45] op_sel:[0,0,1] op_sel_hi:[1,0,0]
	v_pk_fma_f32 v[44:45], v[4:5], v[10:11], v[46:47] op_sel:[0,0,1] op_sel_hi:[1,1,0] neg_lo:[0,0,1] neg_hi:[0,0,1]
	v_pk_fma_f32 v[10:11], v[4:5], v[10:11], v[46:47] op_sel:[0,0,1] op_sel_hi:[1,0,0]
	;; [unrolled: 2-line block ×6, first 2 shown]
	v_mov_b32_e32 v57, v7
	v_mov_b32_e32 v45, v11
	;; [unrolled: 1-line block ×6, first 2 shown]
	v_pk_add_f32 v[6:7], v[36:37], v[44:45] neg_lo:[0,1] neg_hi:[0,1]
	v_pk_add_f32 v[8:9], v[56:57], v[46:47] neg_lo:[0,1] neg_hi:[0,1]
	v_pk_add_f32 v[10:11], v[34:35], v[50:51] neg_lo:[0,1] neg_hi:[0,1]
	v_pk_add_f32 v[12:13], v[48:49], v[52:53] neg_lo:[0,1] neg_hi:[0,1]
	v_pk_fma_f32 v[14:15], v[36:37], 2.0, v[6:7] op_sel_hi:[1,0,1] neg_lo:[0,0,1] neg_hi:[0,0,1]
	v_pk_fma_f32 v[16:17], v[56:57], 2.0, v[8:9] op_sel_hi:[1,0,1] neg_lo:[0,0,1] neg_hi:[0,0,1]
	v_pk_add_f32 v[36:37], v[6:7], v[8:9] op_sel:[0,1] op_sel_hi:[1,0] neg_lo:[0,1] neg_hi:[0,1]
	v_pk_add_f32 v[8:9], v[6:7], v[8:9] op_sel:[0,1] op_sel_hi:[1,0]
	v_pk_fma_f32 v[34:35], v[34:35], 2.0, v[10:11] op_sel_hi:[1,0,1] neg_lo:[0,0,1] neg_hi:[0,0,1]
	v_pk_fma_f32 v[44:45], v[48:49], 2.0, v[12:13] op_sel_hi:[1,0,1] neg_lo:[0,0,1] neg_hi:[0,0,1]
	v_pk_add_f32 v[46:47], v[10:11], v[12:13] op_sel:[0,1] op_sel_hi:[1,0] neg_lo:[0,1] neg_hi:[0,1]
	v_pk_add_f32 v[12:13], v[10:11], v[12:13] op_sel:[0,1] op_sel_hi:[1,0]
	v_pk_add_f32 v[16:17], v[14:15], v[16:17] neg_lo:[0,1] neg_hi:[0,1]
	v_mov_b32_e32 v37, v9
	v_pk_add_f32 v[8:9], v[34:35], v[44:45] neg_lo:[0,1] neg_hi:[0,1]
	v_mov_b32_e32 v47, v13
	v_pk_fma_f32 v[12:13], v[14:15], 2.0, v[16:17] op_sel_hi:[1,0,1] neg_lo:[0,0,1] neg_hi:[0,0,1]
	v_pk_fma_f32 v[6:7], v[6:7], 2.0, v[36:37] op_sel_hi:[1,0,1] neg_lo:[0,0,1] neg_hi:[0,0,1]
	ds_write2_b64 v43, v[16:17], v[36:37] offset0:64 offset1:96
	v_pk_fma_f32 v[14:15], v[34:35], 2.0, v[8:9] op_sel_hi:[1,0,1] neg_lo:[0,0,1] neg_hi:[0,0,1]
	v_pk_fma_f32 v[10:11], v[10:11], 2.0, v[46:47] op_sel_hi:[1,0,1] neg_lo:[0,0,1] neg_hi:[0,0,1]
	ds_write2_b64 v43, v[12:13], v[6:7] offset1:32
	ds_write2_b64 v58, v[14:15], v[10:11] offset1:32
	ds_write2_b64 v58, v[8:9], v[46:47] offset0:64 offset1:96
	s_and_saveexec_b64 s[2:3], vcc
	s_cbranch_execz .LBB0_30
; %bb.29:
	v_lshlrev_b32_e32 v12, 2, v40
	v_mov_b32_e32 v6, v31
	v_mov_b32_e32 v8, v27
	v_and_or_b32 v12, v12, s6, v42
	v_pk_mul_f32 v[6:7], v[6:7], v[4:5] op_sel_hi:[0,1]
	v_pk_mul_f32 v[8:9], v[8:9], v[2:3] op_sel_hi:[0,1]
	v_mov_b32_e32 v10, v29
	v_lshlrev_b32_e32 v12, 7, v12
	v_pk_mul_f32 v[10:11], v[10:11], v[32:33] op_sel_hi:[0,1]
	v_add3_u32 v14, 0, v12, v39
	v_pk_fma_f32 v[12:13], v[30:31], v[4:5], v[6:7] op_sel:[0,0,1] op_sel_hi:[1,1,0] neg_lo:[0,0,1] neg_hi:[0,0,1]
	v_pk_fma_f32 v[4:5], v[30:31], v[4:5], v[6:7] op_sel:[0,0,1] op_sel_hi:[0,1,0]
	v_pk_fma_f32 v[6:7], v[26:27], v[2:3], v[8:9] op_sel:[0,0,1] op_sel_hi:[1,1,0] neg_lo:[0,0,1] neg_hi:[0,0,1]
	v_pk_fma_f32 v[2:3], v[26:27], v[2:3], v[8:9] op_sel:[0,0,1] op_sel_hi:[0,1,0]
	v_mov_b32_e32 v7, v3
	v_pk_fma_f32 v[2:3], v[28:29], v[32:33], v[10:11] op_sel:[0,0,1] op_sel_hi:[1,1,0] neg_lo:[0,0,1] neg_hi:[0,0,1]
	v_pk_fma_f32 v[8:9], v[28:29], v[32:33], v[10:11] op_sel:[0,0,1] op_sel_hi:[0,1,0]
	v_mov_b32_e32 v13, v5
	v_mov_b32_e32 v3, v9
	v_pk_add_f32 v[4:5], v[24:25], v[12:13] neg_lo:[0,1] neg_hi:[0,1]
	v_pk_add_f32 v[2:3], v[6:7], v[2:3] neg_lo:[0,1] neg_hi:[0,1]
	v_pk_fma_f32 v[8:9], v[24:25], 2.0, v[4:5] op_sel_hi:[1,0,1] neg_lo:[0,0,1] neg_hi:[0,0,1]
	v_pk_fma_f32 v[6:7], v[6:7], 2.0, v[2:3] op_sel_hi:[1,0,1] neg_lo:[0,0,1] neg_hi:[0,0,1]
	v_pk_add_f32 v[10:11], v[4:5], v[2:3] op_sel:[0,1] op_sel_hi:[1,0] neg_lo:[0,1] neg_hi:[0,1]
	v_pk_add_f32 v[2:3], v[4:5], v[2:3] op_sel:[0,1] op_sel_hi:[1,0]
	v_pk_add_f32 v[6:7], v[8:9], v[6:7] neg_lo:[0,1] neg_hi:[0,1]
	v_mov_b32_e32 v11, v3
	v_pk_fma_f32 v[8:9], v[8:9], 2.0, v[6:7] op_sel_hi:[1,0,1] neg_lo:[0,0,1] neg_hi:[0,0,1]
	v_pk_fma_f32 v[2:3], v[4:5], 2.0, v[10:11] op_sel_hi:[1,0,1] neg_lo:[0,0,1] neg_hi:[0,0,1]
	ds_write2_b64 v14, v[8:9], v[2:3] offset1:32
	ds_write2_b64 v14, v[6:7], v[10:11] offset0:64 offset1:96
.LBB0_30:
	s_or_b64 exec, exec, s[2:3]
	v_and_b32_e32 v6, 7, v1
	v_lshlrev_b32_e32 v7, 5, v6
	s_waitcnt lgkmcnt(0)
	s_barrier
	global_load_dwordx4 v[2:5], v7, s[12:13] offset:48
	global_load_dwordx4 v[10:13], v7, s[12:13] offset:64
	v_bfe_u32 v7, v0, 4, 3
	v_lshlrev_b32_e32 v8, 5, v7
	global_load_dwordx4 v[14:17], v8, s[12:13] offset:48
	global_load_dwordx4 v[24:27], v8, s[12:13] offset:64
	v_lshlrev_b32_e32 v9, 7, v38
	v_lshrrev_b32_e32 v36, 7, v0
	v_lshrrev_b32_e32 v37, 3, v1
	v_add3_u32 v8, 0, v41, v39
	ds_read2st64_b64 v[28:31], v21 offset0:25 offset1:30
	ds_read2st64_b64 v[32:35], v21 offset0:35 offset1:40
	ds_read2st64_b64 v[40:43], v21 offset1:15
	v_add3_u32 v9, 0, v9, v39
	v_mul_u32_u24_e32 v36, 40, v36
	v_mul_u32_u24_e32 v37, 40, v37
	v_or_b32_e32 v38, v36, v7
	v_or_b32_e32 v48, v37, v6
	ds_read_b64 v[6:7], v9
	ds_read_b64 v[36:37], v8
	;; [unrolled: 1-line block ×3, first 2 shown]
	ds_read_b64 v[46:47], v21 offset:23040
	v_lshlrev_b32_e32 v38, 7, v38
	v_lshlrev_b32_e32 v48, 7, v48
	v_add3_u32 v53, 0, v38, v39
	v_add3_u32 v64, 0, v48, v39
	s_mov_b32 s2, 0x3f737871
	s_mov_b32 s6, 0x3f167918
	;; [unrolled: 1-line block ×3, first 2 shown]
	s_waitcnt lgkmcnt(0)
	s_barrier
	s_waitcnt vmcnt(3)
	v_pk_mul_f32 v[38:39], v[2:3], v[42:43] op_sel:[0,1]
	v_mov_b32_e32 v48, v5
	s_waitcnt vmcnt(2)
	v_pk_mul_f32 v[50:51], v[32:33], v[10:11] op_sel:[0,1]
	v_mov_b32_e32 v52, v13
	s_waitcnt vmcnt(1)
	v_pk_mul_f32 v[54:55], v[14:15], v[36:37] op_sel:[0,1]
	v_pk_mul_f32 v[56:57], v[16:17], v[6:7] op_sel:[0,1]
	s_waitcnt vmcnt(0)
	v_pk_mul_f32 v[58:59], v[24:25], v[30:31] op_sel:[0,1]
	v_pk_mul_f32 v[60:61], v[26:27], v[34:35] op_sel:[0,1]
	v_pk_fma_f32 v[62:63], v[14:15], v[36:37], v[54:55] op_sel:[0,0,1] op_sel_hi:[1,1,0] neg_lo:[0,0,1] neg_hi:[0,0,1]
	v_pk_fma_f32 v[14:15], v[14:15], v[36:37], v[54:55] op_sel:[0,0,1] op_sel_hi:[1,0,0]
	v_pk_fma_f32 v[36:37], v[16:17], v[6:7], v[56:57] op_sel:[0,0,1] op_sel_hi:[1,1,0] neg_lo:[0,0,1] neg_hi:[0,0,1]
	v_pk_fma_f32 v[6:7], v[16:17], v[6:7], v[56:57] op_sel:[0,0,1] op_sel_hi:[1,0,0]
	;; [unrolled: 2-line block ×5, first 2 shown]
	v_pk_mul_f32 v[38:39], v[28:29], v[48:49] op_sel_hi:[1,0]
	v_pk_mul_f32 v[42:43], v[46:47], v[52:53] op_sel_hi:[1,0]
	v_pk_fma_f32 v[48:49], v[24:25], v[30:31], v[58:59] op_sel:[0,0,1] op_sel_hi:[1,1,0] neg_lo:[0,0,1] neg_hi:[0,0,1]
	v_pk_fma_f32 v[24:25], v[24:25], v[30:31], v[58:59] op_sel:[0,0,1] op_sel_hi:[1,0,0]
	v_mov_b32_e32 v17, v11
	v_pk_fma_f32 v[10:11], v[46:47], v[12:13], v[42:43] op_sel:[0,0,1] op_sel_hi:[1,1,0] neg_lo:[0,0,1] neg_hi:[0,0,1]
	v_pk_fma_f32 v[12:13], v[46:47], v[12:13], v[42:43] op_sel:[0,0,1] op_sel_hi:[1,0,0]
	v_mov_b32_e32 v63, v15
	v_mov_b32_e32 v37, v7
	;; [unrolled: 1-line block ×5, first 2 shown]
	v_pk_add_f32 v[12:13], v[36:37], v[48:49]
	v_pk_add_f32 v[14:15], v[62:63], v[32:33] neg_lo:[0,1] neg_hi:[0,1]
	v_mov_b32_e32 v35, v3
	v_pk_fma_f32 v[2:3], v[28:29], v[4:5], v[38:39] op_sel:[0,0,1] op_sel_hi:[1,1,0] neg_lo:[0,0,1] neg_hi:[0,0,1]
	v_pk_fma_f32 v[4:5], v[28:29], v[4:5], v[38:39] op_sel:[0,0,1] op_sel_hi:[1,0,0]
	v_pk_add_f32 v[24:25], v[36:37], v[48:49] neg_lo:[0,1] neg_hi:[0,1]
	v_pk_add_f32 v[26:27], v[62:63], v[36:37] neg_lo:[0,1] neg_hi:[0,1]
	;; [unrolled: 1-line block ×3, first 2 shown]
	v_pk_fma_f32 v[12:13], v[12:13], 0.5, v[40:41] op_sel_hi:[1,0,1] neg_lo:[1,0,0] neg_hi:[1,0,0]
	v_pk_mul_f32 v[30:31], v[14:15], s[2:3] op_sel_hi:[1,0]
	v_pk_add_f32 v[6:7], v[40:41], v[62:63]
	v_pk_mul_f32 v[38:39], v[24:25], s[6:7] op_sel_hi:[1,0]
	v_pk_add_f32 v[26:27], v[26:27], v[28:29]
	v_pk_add_f32 v[28:29], v[12:13], v[30:31] op_sel:[0,1] op_sel_hi:[1,0]
	v_pk_add_f32 v[12:13], v[12:13], v[30:31] op_sel:[0,1] op_sel_hi:[1,0] neg_lo:[0,1] neg_hi:[0,1]
	v_pk_add_f32 v[6:7], v[6:7], v[36:37]
	v_pk_add_f32 v[12:13], v[12:13], v[38:39] op_sel:[0,1] op_sel_hi:[1,0] neg_lo:[0,1] neg_hi:[0,1]
	v_pk_add_f32 v[28:29], v[28:29], v[38:39] op_sel:[0,1] op_sel_hi:[1,0]
	v_pk_add_f32 v[6:7], v[6:7], v[48:49]
	v_mov_b32_e32 v30, v28
	v_mov_b32_e32 v31, v13
	v_pk_add_f32 v[6:7], v[6:7], v[32:33]
	v_pk_fma_f32 v[30:31], v[26:27], s[10:11], v[30:31] op_sel_hi:[1,0,1]
	ds_write2st64_b64 v53, v[6:7], v[30:31] offset1:2
	v_pk_add_f32 v[6:7], v[62:63], v[32:33]
	v_pk_add_f32 v[30:31], v[36:37], v[62:63] neg_lo:[0,1] neg_hi:[0,1]
	v_pk_fma_f32 v[6:7], v[6:7], 0.5, v[40:41] op_sel_hi:[1,0,1] neg_lo:[1,0,0] neg_hi:[1,0,0]
	v_pk_add_f32 v[32:33], v[48:49], v[32:33] neg_lo:[0,1] neg_hi:[0,1]
	v_pk_mul_f32 v[24:25], v[24:25], s[2:3] op_sel_hi:[1,0]
	v_pk_add_f32 v[30:31], v[30:31], v[32:33]
	v_pk_mul_f32 v[14:15], v[14:15], s[6:7] op_sel_hi:[1,0]
	v_pk_add_f32 v[32:33], v[6:7], v[24:25] op_sel:[0,1] op_sel_hi:[1,0] neg_lo:[0,1] neg_hi:[0,1]
	v_pk_add_f32 v[6:7], v[6:7], v[24:25] op_sel:[0,1] op_sel_hi:[1,0]
	v_mov_b32_e32 v13, v29
	v_pk_add_f32 v[6:7], v[6:7], v[14:15] op_sel:[0,1] op_sel_hi:[1,0] neg_lo:[0,1] neg_hi:[0,1]
	v_pk_add_f32 v[14:15], v[32:33], v[14:15] op_sel:[0,1] op_sel_hi:[1,0]
	v_mov_b32_e32 v25, v7
	v_mov_b32_e32 v24, v14
	;; [unrolled: 1-line block ×3, first 2 shown]
	v_pk_fma_f32 v[24:25], v[30:31], s[10:11], v[24:25] op_sel_hi:[1,0,1]
	v_pk_fma_f32 v[6:7], v[30:31], s[10:11], v[6:7] op_sel_hi:[1,0,1]
	v_mov_b32_e32 v3, v5
	ds_write2st64_b64 v53, v[24:25], v[6:7] offset0:4 offset1:6
	v_pk_fma_f32 v[6:7], v[26:27], s[10:11], v[12:13] op_sel_hi:[1,0,1]
	ds_write_b64 v53, v[6:7] offset:4096
	v_pk_add_f32 v[6:7], v[2:3], v[16:17]
	v_pk_add_f32 v[12:13], v[34:35], v[10:11] neg_lo:[0,1] neg_hi:[0,1]
	v_pk_fma_f32 v[6:7], v[6:7], 0.5, v[44:45] op_sel_hi:[1,0,1] neg_lo:[1,0,0] neg_hi:[1,0,0]
	v_pk_mul_f32 v[14:15], v[12:13], s[2:3] op_sel_hi:[1,0]
	v_pk_add_f32 v[24:25], v[2:3], v[16:17] neg_lo:[0,1] neg_hi:[0,1]
	v_pk_add_f32 v[28:29], v[34:35], v[2:3] neg_lo:[0,1] neg_hi:[0,1]
	;; [unrolled: 1-line block ×3, first 2 shown]
	v_pk_add_f32 v[4:5], v[44:45], v[34:35]
	v_pk_mul_f32 v[26:27], v[24:25], s[6:7] op_sel_hi:[1,0]
	v_pk_add_f32 v[28:29], v[28:29], v[30:31]
	v_pk_add_f32 v[30:31], v[6:7], v[14:15] op_sel:[0,1] op_sel_hi:[1,0]
	v_pk_add_f32 v[6:7], v[6:7], v[14:15] op_sel:[0,1] op_sel_hi:[1,0] neg_lo:[0,1] neg_hi:[0,1]
	v_pk_add_f32 v[4:5], v[4:5], v[2:3]
	v_pk_add_f32 v[6:7], v[6:7], v[26:27] op_sel:[0,1] op_sel_hi:[1,0] neg_lo:[0,1] neg_hi:[0,1]
	v_pk_add_f32 v[14:15], v[30:31], v[26:27] op_sel:[0,1] op_sel_hi:[1,0]
	v_pk_add_f32 v[4:5], v[4:5], v[16:17]
	v_mov_b32_e32 v26, v14
	v_mov_b32_e32 v27, v7
	v_pk_add_f32 v[4:5], v[4:5], v[10:11]
	v_pk_fma_f32 v[26:27], v[28:29], s[10:11], v[26:27] op_sel_hi:[1,0,1]
	ds_write2st64_b64 v64, v[4:5], v[26:27] offset1:2
	v_pk_add_f32 v[4:5], v[34:35], v[10:11]
	v_pk_add_f32 v[2:3], v[2:3], v[34:35] neg_lo:[0,1] neg_hi:[0,1]
	v_pk_add_f32 v[10:11], v[16:17], v[10:11] neg_lo:[0,1] neg_hi:[0,1]
	v_pk_fma_f32 v[4:5], v[4:5], 0.5, v[44:45] op_sel_hi:[1,0,1] neg_lo:[1,0,0] neg_hi:[1,0,0]
	v_pk_add_f32 v[2:3], v[2:3], v[10:11]
	v_pk_mul_f32 v[10:11], v[24:25], s[2:3] op_sel_hi:[1,0]
	v_pk_mul_f32 v[12:13], v[12:13], s[6:7] op_sel_hi:[1,0]
	v_pk_add_f32 v[16:17], v[4:5], v[10:11] op_sel:[0,1] op_sel_hi:[1,0] neg_lo:[0,1] neg_hi:[0,1]
	v_pk_add_f32 v[4:5], v[4:5], v[10:11] op_sel:[0,1] op_sel_hi:[1,0]
	v_pk_add_f32 v[10:11], v[16:17], v[12:13] op_sel:[0,1] op_sel_hi:[1,0]
	v_pk_add_f32 v[4:5], v[4:5], v[12:13] op_sel:[0,1] op_sel_hi:[1,0] neg_lo:[0,1] neg_hi:[0,1]
	v_mov_b32_e32 v12, v10
	v_mov_b32_e32 v13, v5
	;; [unrolled: 1-line block ×3, first 2 shown]
	v_pk_fma_f32 v[12:13], v[2:3], s[10:11], v[12:13] op_sel_hi:[1,0,1]
	v_pk_fma_f32 v[2:3], v[2:3], s[10:11], v[4:5] op_sel_hi:[1,0,1]
	v_mov_b32_e32 v7, v15
	ds_write2st64_b64 v64, v[12:13], v[2:3] offset0:4 offset1:6
	v_pk_fma_f32 v[2:3], v[28:29], s[10:11], v[6:7] op_sel_hi:[1,0,1]
	ds_write_b64 v64, v[2:3] offset:4096
	s_waitcnt lgkmcnt(0)
	s_barrier
	s_and_saveexec_b64 s[16:17], s[14:15]
	s_cbranch_execz .LBB0_32
; %bb.31:
	s_movk_i32 s3, 0x280
	v_subrev_u32_e32 v2, 40, v19
	v_cmp_gt_u32_e32 vcc, s3, v0
	v_mov_b32_e32 v7, 0
	s_movk_i32 s3, 0xcd
	v_cndmask_b32_e32 v19, v2, v19, vcc
	v_lshlrev_b32_e32 v6, 2, v19
	v_lshl_add_u64 v[2:3], v[6:7], 3, s[12:13]
	global_load_dwordx4 v[12:15], v[2:3], off offset:304
	global_load_dwordx4 v[24:27], v[2:3], off offset:320
	v_mul_lo_u16_sdwa v2, v1, s3 dst_sel:DWORD dst_unused:UNUSED_PAD src0_sel:BYTE_0 src1_sel:DWORD
	v_lshrrev_b16_e32 v6, 13, v2
	v_mul_lo_u16_e32 v2, 40, v6
	v_sub_u16_e32 v2, v1, v2
	v_and_b32_e32 v70, 0xff, v2
	s_load_dwordx2 s[0:1], s[0:1], 0x8
	v_lshlrev_b32_e32 v2, 5, v70
	global_load_dwordx4 v[28:31], v2, s[12:13] offset:320
	global_load_dwordx4 v[40:43], v2, s[12:13] offset:304
	v_add_u32_e32 v2, 0xa0, v70
	v_mov_b32_e32 v72, 3
	v_mul_lo_u32 v2, v22, v2
	v_lshlrev_b32_sdwa v4, v72, v2 dst_sel:DWORD dst_unused:UNUSED_PAD src0_sel:DWORD src1_sel:BYTE_0
	v_lshlrev_b32_sdwa v2, v72, v2 dst_sel:DWORD dst_unused:UNUSED_PAD src0_sel:DWORD src1_sel:BYTE_1
	s_waitcnt lgkmcnt(0)
	global_load_dwordx2 v[16:17], v4, s[0:1]
	global_load_dwordx2 v[52:53], v2, s[0:1] offset:2048
	v_add_u32_e32 v3, 0x78, v70
	v_mul_lo_u32 v3, v22, v3
	v_lshlrev_b32_sdwa v2, v72, v3 dst_sel:DWORD dst_unused:UNUSED_PAD src0_sel:DWORD src1_sel:BYTE_1
	global_load_dwordx2 v[54:55], v2, s[0:1] offset:2048
	v_lshlrev_b32_sdwa v2, v72, v3 dst_sel:DWORD dst_unused:UNUSED_PAD src0_sel:DWORD src1_sel:BYTE_0
	global_load_dwordx2 v[56:57], v2, s[0:1]
	ds_read2st64_b64 v[2:5], v21 offset1:15
	ds_read2st64_b64 v[44:47], v21 offset0:25 offset1:30
	ds_read_b64 v[58:59], v21 offset:23040
	ds_read_b64 v[60:61], v23
	ds_read_b64 v[10:11], v8
	ds_read2st64_b64 v[48:51], v21 offset0:35 offset1:40
	ds_read_b64 v[34:35], v9
	s_waitcnt vmcnt(7)
	v_mov_b32_e32 v8, v15
	v_mov_b32_e32 v9, v14
	s_waitcnt vmcnt(6)
	v_mov_b32_e32 v36, v27
	v_mov_b32_e32 v37, v26
	s_waitcnt lgkmcnt(2)
	v_pk_mul_f32 v[32:33], v[12:13], v[10:11] op_sel:[1,1] op_sel_hi:[0,1]
	v_pk_mul_f32 v[38:39], v[24:25], v[46:47] op_sel:[1,1] op_sel_hi:[0,1]
	s_waitcnt lgkmcnt(0)
	v_pk_mul_f32 v[62:63], v[8:9], v[34:35] op_sel:[0,1]
	v_pk_mul_f32 v[36:37], v[36:37], v[50:51] op_sel:[0,1]
	v_pk_fma_f32 v[8:9], v[12:13], v[10:11], v[32:33] neg_lo:[0,0,1] neg_hi:[0,0,1]
	v_pk_fma_f32 v[32:33], v[12:13], v[10:11], v[32:33] op_sel_hi:[1,0,1]
	v_pk_fma_f32 v[12:13], v[14:15], v[34:35], v[62:63] neg_lo:[0,0,1] neg_hi:[0,0,1]
	v_pk_fma_f32 v[34:35], v[14:15], v[34:35], v[62:63] op_sel_hi:[1,0,1]
	;; [unrolled: 2-line block ×4, first 2 shown]
	s_waitcnt vmcnt(5)
	v_mov_b32_e32 v24, v31
	v_pk_mul_f32 v[26:27], v[48:49], v[28:29] op_sel:[0,1]
	v_pk_mul_f32 v[24:25], v[58:59], v[24:25] op_sel_hi:[1,0]
	v_pk_fma_f32 v[46:47], v[48:49], v[28:29], v[26:27] op_sel:[0,0,1] op_sel_hi:[1,1,0] neg_lo:[0,0,1] neg_hi:[0,0,1]
	v_pk_fma_f32 v[26:27], v[48:49], v[28:29], v[26:27] op_sel:[0,0,1] op_sel_hi:[1,0,0]
	v_pk_fma_f32 v[28:29], v[58:59], v[30:31], v[24:25] op_sel:[0,0,1] op_sel_hi:[1,1,0] neg_lo:[0,0,1] neg_hi:[0,0,1]
	s_waitcnt vmcnt(4)
	v_mov_b32_e32 v26, v43
	v_pk_fma_f32 v[24:25], v[58:59], v[30:31], v[24:25] op_sel:[0,0,1] op_sel_hi:[1,0,0]
	v_pk_mul_f32 v[30:31], v[40:41], v[4:5] op_sel:[0,1]
	v_pk_mul_f32 v[48:49], v[44:45], v[26:27] op_sel_hi:[1,0]
	v_pk_fma_f32 v[50:51], v[40:41], v[4:5], v[30:31] op_sel:[0,0,1] op_sel_hi:[1,1,0] neg_lo:[0,0,1] neg_hi:[0,0,1]
	v_pk_fma_f32 v[4:5], v[40:41], v[4:5], v[30:31] op_sel:[0,0,1] op_sel_hi:[1,0,0]
	v_pk_fma_f32 v[30:31], v[44:45], v[42:43], v[48:49] op_sel:[0,0,1] op_sel_hi:[1,1,0] neg_lo:[0,0,1] neg_hi:[0,0,1]
	v_pk_fma_f32 v[40:41], v[44:45], v[42:43], v[48:49] op_sel:[0,0,1] op_sel_hi:[1,0,0]
	v_mov_b32_e32 v47, v27
	s_waitcnt vmcnt(2)
	v_mov_b32_e32 v4, v53
	v_pk_mul_f32 v[26:27], v[16:17], v[52:53] op_sel:[1,0] op_sel_hi:[0,1]
	v_mov_b32_e32 v51, v5
	v_mov_b32_e32 v31, v41
	v_pk_mul_f32 v[4:5], v[16:17], v[4:5] op_sel:[1,0] op_sel_hi:[0,1]
	v_mov_b32_e32 v26, v27
	v_mov_b32_e32 v29, v25
	v_pk_fma_f32 v[44:45], v[16:17], v[52:53], v[4:5] neg_lo:[0,0,1] neg_hi:[0,0,1]
	v_pk_fma_f32 v[4:5], v[16:17], v[52:53], v[26:27] op_sel:[1,0,0] op_sel_hi:[0,1,1]
	v_pk_add_f32 v[16:17], v[30:31], v[46:47]
	v_pk_add_f32 v[40:41], v[50:51], v[30:31] neg_lo:[0,1] neg_hi:[0,1]
	v_pk_add_f32 v[42:43], v[28:29], v[46:47] neg_lo:[0,1] neg_hi:[0,1]
	;; [unrolled: 1-line block ×3, first 2 shown]
	v_pk_fma_f32 v[16:17], v[16:17], 0.5, v[60:61] op_sel_hi:[1,0,1] neg_lo:[1,0,0] neg_hi:[1,0,0]
	v_pk_add_f32 v[52:53], v[30:31], v[46:47] neg_lo:[0,1] neg_hi:[0,1]
	v_pk_add_f32 v[40:41], v[40:41], v[42:43]
	v_pk_fma_f32 v[42:43], v[48:49], s[2:3], v[16:17] op_sel:[1,0,0] op_sel_hi:[0,0,1] neg_lo:[1,0,0] neg_hi:[1,0,0]
	v_pk_fma_f32 v[58:59], v[48:49], s[2:3], v[16:17] op_sel:[1,0,0] op_sel_hi:[0,0,1]
	v_pk_fma_f32 v[16:17], v[52:53], s[6:7], v[42:43] op_sel:[1,0,0] op_sel_hi:[0,0,1] neg_lo:[1,0,0] neg_hi:[1,0,0]
	v_pk_fma_f32 v[26:27], v[52:53], s[6:7], v[58:59] op_sel:[1,0,0] op_sel_hi:[0,0,1]
	v_mov_b32_e32 v17, v27
	v_pk_fma_f32 v[16:17], v[40:41], s[10:11], v[16:17] op_sel_hi:[1,0,1]
	s_waitcnt vmcnt(1)
	v_mov_b32_e32 v24, v55
	v_pk_mul_f32 v[26:27], v[16:17], v[4:5] op_sel_hi:[1,0]
	s_waitcnt vmcnt(0)
	v_pk_mul_f32 v[24:25], v[56:57], v[24:25] op_sel:[1,0] op_sel_hi:[0,1]
	v_pk_fma_f32 v[4:5], v[16:17], v[44:45], v[26:27] op_sel:[0,0,1] op_sel_hi:[1,1,0] neg_lo:[0,0,1] neg_hi:[0,0,1]
	v_pk_fma_f32 v[16:17], v[16:17], v[44:45], v[26:27] op_sel:[0,0,1] op_sel_hi:[1,0,0]
	v_pk_mul_f32 v[26:27], v[56:57], v[54:55] op_sel:[1,0] op_sel_hi:[0,1]
	v_mov_b32_e32 v16, v27
	v_pk_fma_f32 v[44:45], v[56:57], v[54:55], v[24:25] neg_lo:[0,0,1] neg_hi:[0,0,1]
	v_pk_fma_f32 v[24:25], v[56:57], v[54:55], v[16:17] op_sel:[1,0,0] op_sel_hi:[0,1,1]
	v_pk_add_f32 v[26:27], v[30:31], v[50:51] neg_lo:[0,1] neg_hi:[0,1]
	v_pk_add_f32 v[54:55], v[46:47], v[28:29] neg_lo:[0,1] neg_hi:[0,1]
	v_add_u32_e32 v5, 0x50, v70
	v_pk_add_f32 v[54:55], v[26:27], v[54:55]
	v_pk_add_f32 v[26:27], v[50:51], v[28:29]
	v_mul_lo_u32 v5, v22, v5
	v_pk_fma_f32 v[26:27], v[26:27], 0.5, v[60:61] op_sel_hi:[1,0,1] neg_lo:[1,0,0] neg_hi:[1,0,0]
	v_add_u32_e32 v11, 40, v70
	v_pk_fma_f32 v[56:57], v[52:53], s[2:3], v[26:27] op_sel:[1,0,0] op_sel_hi:[0,0,1]
	v_pk_fma_f32 v[62:63], v[52:53], s[2:3], v[26:27] op_sel:[1,0,0] op_sel_hi:[0,0,1] neg_lo:[1,0,0] neg_hi:[1,0,0]
	v_pk_fma_f32 v[26:27], v[48:49], s[6:7], v[56:57] op_sel:[1,0,0] op_sel_hi:[0,0,1] neg_lo:[1,0,0] neg_hi:[1,0,0]
	v_pk_fma_f32 v[64:65], v[48:49], s[6:7], v[62:63] op_sel:[1,0,0] op_sel_hi:[0,0,1]
	v_mov_b32_e32 v27, v65
	v_pk_fma_f32 v[26:27], v[54:55], s[10:11], v[26:27] op_sel_hi:[1,0,1]
	v_lshlrev_b32_sdwa v9, v72, v5 dst_sel:DWORD dst_unused:UNUSED_PAD src0_sel:DWORD src1_sel:BYTE_0
	v_pk_mul_f32 v[64:65], v[26:27], v[24:25] op_sel_hi:[1,0]
	v_mul_lo_u32 v11, v22, v11
	v_pk_fma_f32 v[24:25], v[26:27], v[44:45], v[64:65] op_sel:[0,0,1] op_sel_hi:[1,1,0] neg_lo:[0,0,1] neg_hi:[0,0,1]
	v_pk_fma_f32 v[26:27], v[26:27], v[44:45], v[64:65] op_sel:[0,0,1] op_sel_hi:[1,0,0]
	v_lshlrev_b32_sdwa v5, v72, v5 dst_sel:DWORD dst_unused:UNUSED_PAD src0_sel:DWORD src1_sel:BYTE_1
	v_lshlrev_b32_sdwa v13, v72, v11 dst_sel:DWORD dst_unused:UNUSED_PAD src0_sel:DWORD src1_sel:BYTE_0
	v_lshlrev_b32_sdwa v11, v72, v11 dst_sel:DWORD dst_unused:UNUSED_PAD src0_sel:DWORD src1_sel:BYTE_1
	global_load_dwordx2 v[44:45], v9, s[0:1]
	global_load_dwordx2 v[64:65], v5, s[0:1] offset:2048
	global_load_dwordx2 v[66:67], v13, s[0:1]
	global_load_dwordx2 v[68:69], v11, s[0:1] offset:2048
	v_pk_add_f32 v[50:51], v[60:61], v[50:51]
	v_add_u32_e32 v13, 0x78, v19
	v_pk_add_f32 v[30:31], v[50:51], v[30:31]
	v_mul_lo_u32 v13, v22, v13
	v_pk_add_f32 v[30:31], v[30:31], v[46:47]
	v_lshlrev_b32_sdwa v15, v72, v13 dst_sel:DWORD dst_unused:UNUSED_PAD src0_sel:DWORD src1_sel:BYTE_0
	v_pk_add_f32 v[30:31], v[30:31], v[28:29]
	s_waitcnt vmcnt(2)
	v_mul_f32_e32 v5, v45, v65
	v_mul_f32_e32 v21, v44, v65
	s_waitcnt vmcnt(0)
	v_mul_f32_e32 v9, v67, v69
	v_fma_f32 v25, v66, v68, -v9
	v_mul_lo_u32 v9, v22, v70
	v_lshlrev_b32_sdwa v11, v72, v9 dst_sel:DWORD dst_unused:UNUSED_PAD src0_sel:DWORD src1_sel:BYTE_0
	v_lshlrev_b32_sdwa v9, v72, v9 dst_sel:DWORD dst_unused:UNUSED_PAD src0_sel:DWORD src1_sel:BYTE_1
	v_fma_f32 v5, v44, v64, -v5
	v_fmac_f32_e32 v21, v45, v64
	global_load_dwordx2 v[44:45], v9, s[0:1] offset:2048
	global_load_dwordx2 v[64:65], v11, s[0:1]
	v_mul_f32_e32 v26, v66, v69
	v_fmac_f32_e32 v26, v67, v68
	v_add_u32_e32 v9, 0xa0, v19
	v_mul_lo_u32 v9, v22, v9
	v_lshlrev_b32_sdwa v11, v72, v9 dst_sel:DWORD dst_unused:UNUSED_PAD src0_sel:DWORD src1_sel:BYTE_0
	v_lshlrev_b32_sdwa v9, v72, v9 dst_sel:DWORD dst_unused:UNUSED_PAD src0_sel:DWORD src1_sel:BYTE_1
	s_waitcnt vmcnt(1)
	v_mov_b32_e32 v16, v45
	s_waitcnt vmcnt(0)
	v_pk_mul_f32 v[68:69], v[64:65], v[44:45] op_sel:[1,0] op_sel_hi:[0,1]
	v_pk_mul_f32 v[66:67], v[64:65], v[16:17] op_sel:[1,0] op_sel_hi:[0,1]
	v_mov_b32_e32 v16, v69
	v_pk_fma_f32 v[66:67], v[64:65], v[44:45], v[66:67] neg_lo:[0,0,1] neg_hi:[0,0,1]
	v_pk_fma_f32 v[44:45], v[64:65], v[44:45], v[16:17] op_sel:[1,0,0] op_sel_hi:[0,1,1]
	v_pk_mul_f32 v[44:45], v[30:31], v[44:45] op_sel_hi:[1,0]
	s_nop 0
	v_pk_fma_f32 v[28:29], v[30:31], v[66:67], v[44:45] op_sel:[0,0,1] op_sel_hi:[1,1,0] neg_lo:[0,0,1] neg_hi:[0,0,1]
	v_pk_fma_f32 v[30:31], v[30:31], v[66:67], v[44:45] op_sel:[0,0,1] op_sel_hi:[1,0,0]
	global_load_dwordx2 v[44:45], v15, s[0:1]
	global_load_dwordx2 v[46:47], v9, s[0:1] offset:2048
	global_load_dwordx2 v[50:51], v11, s[0:1]
	v_lshlrev_b32_sdwa v9, v72, v13 dst_sel:DWORD dst_unused:UNUSED_PAD src0_sel:DWORD src1_sel:BYTE_1
	v_add_u32_e32 v13, 40, v19
	v_mul_lo_u32 v13, v22, v13
	v_lshlrev_b32_sdwa v15, v72, v13 dst_sel:DWORD dst_unused:UNUSED_PAD src0_sel:DWORD src1_sel:BYTE_0
	v_lshlrev_b32_sdwa v13, v72, v13 dst_sel:DWORD dst_unused:UNUSED_PAD src0_sel:DWORD src1_sel:BYTE_1
	s_waitcnt vmcnt(1)
	v_mov_b32_e32 v16, v47
	s_waitcnt vmcnt(0)
	v_pk_mul_f32 v[64:65], v[50:51], v[46:47] op_sel:[1,0] op_sel_hi:[0,1]
	v_pk_mul_f32 v[60:61], v[50:51], v[16:17] op_sel:[1,0] op_sel_hi:[0,1]
	v_mov_b32_e32 v16, v65
	v_pk_fma_f32 v[60:61], v[50:51], v[46:47], v[60:61] neg_lo:[0,0,1] neg_hi:[0,0,1]
	v_pk_fma_f32 v[46:47], v[50:51], v[46:47], v[16:17] op_sel:[1,0,0] op_sel_hi:[0,1,1]
	global_load_dwordx2 v[50:51], v9, s[0:1] offset:2048
	v_add_u32_e32 v9, 0x50, v19
	v_mul_lo_u32 v9, v22, v9
	v_lshlrev_b32_sdwa v11, v72, v9 dst_sel:DWORD dst_unused:UNUSED_PAD src0_sel:DWORD src1_sel:BYTE_0
	v_lshlrev_b32_sdwa v9, v72, v9 dst_sel:DWORD dst_unused:UNUSED_PAD src0_sel:DWORD src1_sel:BYTE_1
	s_waitcnt vmcnt(0)
	v_mov_b32_e32 v16, v51
	v_pk_mul_f32 v[66:67], v[44:45], v[50:51] op_sel:[1,0] op_sel_hi:[0,1]
	v_pk_mul_f32 v[64:65], v[44:45], v[16:17] op_sel:[1,0] op_sel_hi:[0,1]
	v_mov_b32_e32 v16, v67
	v_pk_fma_f32 v[64:65], v[44:45], v[50:51], v[64:65] neg_lo:[0,0,1] neg_hi:[0,0,1]
	v_pk_fma_f32 v[44:45], v[44:45], v[50:51], v[16:17] op_sel:[1,0,0] op_sel_hi:[0,1,1]
	global_load_dwordx2 v[50:51], v11, s[0:1]
	global_load_dwordx2 v[66:67], v9, s[0:1] offset:2048
	global_load_dwordx2 v[68:69], v15, s[0:1]
	global_load_dwordx2 v[70:71], v13, s[0:1] offset:2048
	v_mov_b32_e32 v13, v35
	v_mov_b32_e32 v15, v39
	s_waitcnt vmcnt(2)
	v_mul_f32_e32 v9, v51, v67
	v_fma_f32 v29, v50, v66, -v9
	s_waitcnt vmcnt(0)
	v_mul_f32_e32 v9, v69, v71
	v_fma_f32 v42, v68, v70, -v9
	v_mul_lo_u32 v9, v22, v19
	v_mul_f32_e32 v30, v50, v67
	v_lshlrev_b32_sdwa v11, v72, v9 dst_sel:DWORD dst_unused:UNUSED_PAD src0_sel:DWORD src1_sel:BYTE_0
	v_lshlrev_b32_sdwa v9, v72, v9 dst_sel:DWORD dst_unused:UNUSED_PAD src0_sel:DWORD src1_sel:BYTE_1
	v_fmac_f32_e32 v30, v51, v66
	global_load_dwordx2 v[22:23], v9, s[0:1] offset:2048
	global_load_dwordx2 v[50:51], v11, s[0:1]
	v_mov_b32_e32 v9, v33
	v_mov_b32_e32 v11, v37
	v_mul_f32_e32 v56, v68, v71
	v_pk_add_f32 v[32:33], v[8:9], v[12:13] neg_lo:[0,1] neg_hi:[0,1]
	v_pk_add_f32 v[34:35], v[10:11], v[14:15] neg_lo:[0,1] neg_hi:[0,1]
	v_fmac_f32_e32 v56, v69, v70
	v_pk_add_f32 v[32:33], v[32:33], v[34:35]
	v_pk_add_f32 v[34:35], v[12:13], v[14:15]
	v_pk_add_f32 v[36:37], v[8:9], v[10:11] neg_lo:[0,1] neg_hi:[0,1]
	v_pk_fma_f32 v[34:35], v[34:35], 0.5, v[2:3] op_sel_hi:[1,0,1] neg_lo:[1,0,0] neg_hi:[1,0,0]
	s_movk_i32 s0, 0x27f
	v_pk_fma_f32 v[38:39], v[36:37], s[2:3], v[34:35] op_sel:[1,0,0] op_sel_hi:[0,0,1] neg_lo:[1,0,0] neg_hi:[1,0,0]
	v_pk_fma_f32 v[34:35], v[36:37], s[2:3], v[34:35] op_sel:[1,0,0] op_sel_hi:[0,0,1]
	v_cmp_lt_u32_e32 vcc, s0, v0
	s_movk_i32 s3, 0xa0
	s_waitcnt vmcnt(1)
	v_mov_b32_e32 v16, v23
	s_waitcnt vmcnt(0)
	v_pk_mul_f32 v[68:69], v[50:51], v[22:23] op_sel:[1,0] op_sel_hi:[0,1]
	v_pk_mul_f32 v[66:67], v[50:51], v[16:17] op_sel:[1,0] op_sel_hi:[0,1]
	v_mov_b32_e32 v16, v69
	v_pk_fma_f32 v[66:67], v[50:51], v[22:23], v[66:67] neg_lo:[0,0,1] neg_hi:[0,0,1]
	v_pk_fma_f32 v[22:23], v[50:51], v[22:23], v[16:17] op_sel:[1,0,0] op_sel_hi:[0,1,1]
	v_pk_add_f32 v[50:51], v[12:13], v[14:15] neg_lo:[0,1] neg_hi:[0,1]
	v_add_u32_e32 v16, v18, v20
	v_pk_fma_f32 v[68:69], v[50:51], s[6:7], v[38:39] op_sel:[1,0,0] op_sel_hi:[0,0,1] neg_lo:[1,0,0] neg_hi:[1,0,0]
	v_pk_fma_f32 v[70:71], v[50:51], s[6:7], v[34:35] op_sel:[1,0,0] op_sel_hi:[0,0,1]
	v_mov_b32_e32 v69, v71
	v_pk_fma_f32 v[68:69], v[32:33], s[10:11], v[68:69] op_sel_hi:[1,0,1]
	v_mov_b32_e32 v18, 0xc8
	v_pk_mul_f32 v[46:47], v[68:69], v[46:47] op_sel_hi:[1,0]
	v_cndmask_b32_e32 v0, 0, v18, vcc
	v_pk_fma_f32 v[70:71], v[68:69], v[60:61], v[46:47] op_sel:[0,0,1] op_sel_hi:[1,1,0] neg_lo:[0,0,1] neg_hi:[0,0,1]
	v_pk_fma_f32 v[46:47], v[68:69], v[60:61], v[46:47] op_sel:[0,0,1] op_sel_hi:[1,0,0]
	v_pk_add_f32 v[60:61], v[2:3], v[8:9]
	v_add_u32_e32 v0, v19, v0
	v_pk_add_f32 v[60:61], v[60:61], v[12:13]
	v_mad_u64_u32 v[18:19], s[0:1], s8, v0, v[16:17]
	v_pk_add_f32 v[60:61], v[60:61], v[14:15]
	v_mov_b32_e32 v19, v7
	v_pk_add_f32 v[60:61], v[60:61], v[10:11]
	v_lshl_add_u64 v[18:19], v[18:19], 3, s[4:5]
	v_pk_mul_f32 v[22:23], v[60:61], v[22:23] op_sel_hi:[1,0]
	v_pk_mul_f32 v[32:33], v[32:33], s[10:11] op_sel_hi:[1,0]
	v_pk_fma_f32 v[68:69], v[60:61], v[66:67], v[22:23] op_sel:[0,0,1] op_sel_hi:[1,1,0] neg_lo:[0,0,1] neg_hi:[0,0,1]
	v_pk_fma_f32 v[22:23], v[60:61], v[66:67], v[22:23] op_sel:[0,0,1] op_sel_hi:[1,0,0]
	v_pk_add_f32 v[12:13], v[12:13], v[8:9] neg_lo:[0,1] neg_hi:[0,1]
	v_mov_b32_e32 v69, v23
	global_store_dwordx2 v[18:19], v[68:69], off
	v_pk_mul_f32 v[18:19], v[48:49], s[6:7] op_sel:[1,0] op_sel_hi:[0,0]
	v_sub_f32_e32 v20, v57, v19
	v_add_f32_e32 v22, v18, v62
	v_pk_mul_f32 v[18:19], v[52:53], s[6:7] op_sel:[1,0] op_sel_hi:[0,0]
	v_sub_f32_e32 v23, v43, v19
	v_add_f32_e32 v35, v18, v58
	v_pk_mul_f32 v[18:19], v[54:55], s[10:11] op_sel_hi:[1,0]
	v_pk_add_f32 v[8:9], v[8:9], v[10:11]
	v_add_f32_e32 v18, v18, v22
	v_add_f32_e32 v20, v19, v20
	v_mul_f32_e32 v19, v18, v21
	v_mul_f32_e32 v22, v20, v21
	v_fmac_f32_e32 v19, v20, v5
	v_pk_mul_f32 v[20:21], v[40:41], s[10:11] op_sel_hi:[1,0]
	v_fma_f32 v18, v18, v5, -v22
	v_add_f32_e32 v20, v20, v35
	v_add_f32_e32 v5, v21, v23
	v_mul_f32_e32 v21, v20, v26
	v_fmac_f32_e32 v21, v5, v25
	v_mul_f32_e32 v5, v5, v26
	v_fma_f32 v20, v20, v25, -v5
	v_add_u32_e32 v5, 40, v0
	v_pk_mul_f32 v[22:23], v[50:51], s[6:7] op_sel:[1,0] op_sel_hi:[0,0]
	v_sub_f32_e32 v25, v39, v23
	v_mad_u64_u32 v[38:39], s[0:1], s8, v5, v[16:17]
	v_add_f32_e32 v5, v22, v34
	v_add_f32_e32 v25, v33, v25
	;; [unrolled: 1-line block ×3, first 2 shown]
	v_mov_b32_e32 v39, v7
	v_mul_f32_e32 v33, v5, v56
	v_mul_f32_e32 v32, v25, v56
	v_pk_add_f32 v[14:15], v[14:15], v[10:11] neg_lo:[0,1] neg_hi:[0,1]
	v_pk_fma_f32 v[2:3], v[8:9], 0.5, v[2:3] op_sel_hi:[1,0,1] neg_lo:[1,0,0] neg_hi:[1,0,0]
	v_lshl_add_u64 v[38:39], v[38:39], 3, s[4:5]
	v_fma_f32 v32, v5, v42, -v32
	v_fmac_f32_e32 v33, v25, v42
	v_pk_add_f32 v[12:13], v[12:13], v[14:15]
	v_pk_fma_f32 v[8:9], v[50:51], s[2:3], v[2:3] op_sel:[1,0,0] op_sel_hi:[0,0,1]
	v_pk_fma_f32 v[2:3], v[50:51], s[2:3], v[2:3] op_sel:[1,0,0] op_sel_hi:[0,0,1] neg_lo:[1,0,0] neg_hi:[1,0,0]
	v_pk_mul_f32 v[10:11], v[36:37], s[6:7] op_sel:[1,0] op_sel_hi:[0,0]
	v_add_u32_e32 v22, 0x50, v0
	v_add_u32_e32 v26, 0x78, v0
	;; [unrolled: 1-line block ×3, first 2 shown]
	global_store_dwordx2 v[38:39], v[32:33], off
	v_pk_mul_f32 v[14:15], v[12:13], s[10:11] op_sel_hi:[1,0]
	v_pk_fma_f32 v[32:33], v[36:37], s[6:7], v[8:9] op_sel:[1,0,0] op_sel_hi:[0,0,1] neg_lo:[1,0,0] neg_hi:[1,0,0]
	v_pk_fma_f32 v[36:37], v[36:37], s[6:7], v[2:3] op_sel:[1,0,0] op_sel_hi:[0,0,1]
	v_add_f32_e32 v2, v10, v2
	v_mad_u64_u32 v[40:41], s[0:1], s8, v0, v[16:17]
	v_sub_f32_e32 v0, v9, v11
	v_add_f32_e32 v2, v14, v2
	v_mad_u64_u32 v[22:23], s[0:1], s8, v22, v[16:17]
	v_add_f32_e32 v0, v15, v0
	v_mul_f32_e32 v3, v2, v30
	v_mov_b32_e32 v23, v7
	v_fmac_f32_e32 v3, v0, v29
	v_mul_f32_e32 v0, v0, v30
	v_lshl_add_u64 v[22:23], v[22:23], 3, s[4:5]
	v_mov_b32_e32 v33, v37
	v_fma_f32 v2, v2, v29, -v0
	v_pk_fma_f32 v[12:13], v[12:13], s[10:11], v[32:33] op_sel_hi:[1,0,1]
	global_store_dwordx2 v[22:23], v[2:3], off
	v_mad_u32_u24 v2, v6, s3, v1
	v_mad_u64_u32 v[34:35], s[0:1], s8, v26, v[16:17]
	v_pk_mul_f32 v[32:33], v[12:13], v[44:45] op_sel_hi:[1,0]
	v_mad_u64_u32 v[0:1], s[0:1], s8, v2, v[16:17]
	v_mov_b32_e32 v35, v7
	v_mov_b32_e32 v41, v7
	v_pk_fma_f32 v[36:37], v[12:13], v[64:65], v[32:33] op_sel:[0,0,1] op_sel_hi:[1,1,0] neg_lo:[0,0,1] neg_hi:[0,0,1]
	v_pk_fma_f32 v[12:13], v[12:13], v[64:65], v[32:33] op_sel:[0,0,1] op_sel_hi:[1,0,0]
	v_mov_b32_e32 v1, v7
	v_lshl_add_u64 v[34:35], v[34:35], 3, s[4:5]
	v_lshl_add_u64 v[40:41], v[40:41], 3, s[4:5]
	v_mov_b32_e32 v37, v13
	v_mov_b32_e32 v71, v47
	v_lshl_add_u64 v[0:1], v[0:1], 3, s[4:5]
	v_mov_b32_e32 v29, v31
	global_store_dwordx2 v[34:35], v[36:37], off
	global_store_dwordx2 v[40:41], v[70:71], off
	;; [unrolled: 1-line block ×3, first 2 shown]
	v_add_u32_e32 v0, 40, v2
	v_mad_u64_u32 v[0:1], s[0:1], s8, v0, v[16:17]
	v_mov_b32_e32 v1, v7
	v_lshl_add_u64 v[0:1], v[0:1], 3, s[4:5]
	global_store_dwordx2 v[0:1], v[20:21], off
	v_add_u32_e32 v0, 0x50, v2
	v_mad_u64_u32 v[0:1], s[0:1], s8, v0, v[16:17]
	v_mov_b32_e32 v1, v7
	v_lshl_add_u64 v[0:1], v[0:1], 3, s[4:5]
	global_store_dwordx2 v[0:1], v[18:19], off
	v_add_u32_e32 v0, 0x78, v2
	v_mad_u64_u32 v[0:1], s[0:1], s8, v0, v[16:17]
	v_mov_b32_e32 v1, v7
	v_lshl_add_u64 v[0:1], v[0:1], 3, s[4:5]
	v_mov_b32_e32 v25, v27
	global_store_dwordx2 v[0:1], v[24:25], off
	v_add_u32_e32 v0, 0xa0, v2
	v_mad_u64_u32 v[0:1], s[0:1], s8, v0, v[16:17]
	v_mov_b32_e32 v1, v7
	v_lshl_add_u64 v[0:1], v[0:1], 3, s[4:5]
	v_mov_b32_e32 v5, v17
	global_store_dwordx2 v[0:1], v[4:5], off
.LBB0_32:
	s_endpgm
	.section	.rodata,"a",@progbits
	.p2align	6, 0x0
	.amdhsa_kernel fft_rtc_fwd_len200_factors_2_4_5_5_wgs_320_tpt_20_dim3_sp_ip_CI_sbcc_twdbase8_2step_dirReg_intrinsicReadWrite
		.amdhsa_group_segment_fixed_size 0
		.amdhsa_private_segment_fixed_size 0
		.amdhsa_kernarg_size 88
		.amdhsa_user_sgpr_count 2
		.amdhsa_user_sgpr_dispatch_ptr 0
		.amdhsa_user_sgpr_queue_ptr 0
		.amdhsa_user_sgpr_kernarg_segment_ptr 1
		.amdhsa_user_sgpr_dispatch_id 0
		.amdhsa_user_sgpr_kernarg_preload_length 0
		.amdhsa_user_sgpr_kernarg_preload_offset 0
		.amdhsa_user_sgpr_private_segment_size 0
		.amdhsa_uses_dynamic_stack 0
		.amdhsa_enable_private_segment 0
		.amdhsa_system_sgpr_workgroup_id_x 1
		.amdhsa_system_sgpr_workgroup_id_y 0
		.amdhsa_system_sgpr_workgroup_id_z 0
		.amdhsa_system_sgpr_workgroup_info 0
		.amdhsa_system_vgpr_workitem_id 0
		.amdhsa_next_free_vgpr 73
		.amdhsa_next_free_sgpr 26
		.amdhsa_accum_offset 76
		.amdhsa_reserve_vcc 1
		.amdhsa_float_round_mode_32 0
		.amdhsa_float_round_mode_16_64 0
		.amdhsa_float_denorm_mode_32 3
		.amdhsa_float_denorm_mode_16_64 3
		.amdhsa_dx10_clamp 1
		.amdhsa_ieee_mode 1
		.amdhsa_fp16_overflow 0
		.amdhsa_tg_split 0
		.amdhsa_exception_fp_ieee_invalid_op 0
		.amdhsa_exception_fp_denorm_src 0
		.amdhsa_exception_fp_ieee_div_zero 0
		.amdhsa_exception_fp_ieee_overflow 0
		.amdhsa_exception_fp_ieee_underflow 0
		.amdhsa_exception_fp_ieee_inexact 0
		.amdhsa_exception_int_div_zero 0
	.end_amdhsa_kernel
	.text
.Lfunc_end0:
	.size	fft_rtc_fwd_len200_factors_2_4_5_5_wgs_320_tpt_20_dim3_sp_ip_CI_sbcc_twdbase8_2step_dirReg_intrinsicReadWrite, .Lfunc_end0-fft_rtc_fwd_len200_factors_2_4_5_5_wgs_320_tpt_20_dim3_sp_ip_CI_sbcc_twdbase8_2step_dirReg_intrinsicReadWrite
                                        ; -- End function
	.section	.AMDGPU.csdata,"",@progbits
; Kernel info:
; codeLenInByte = 5812
; NumSgprs: 32
; NumVgprs: 73
; NumAgprs: 0
; TotalNumVgprs: 73
; ScratchSize: 0
; MemoryBound: 0
; FloatMode: 240
; IeeeMode: 1
; LDSByteSize: 0 bytes/workgroup (compile time only)
; SGPRBlocks: 3
; VGPRBlocks: 9
; NumSGPRsForWavesPerEU: 32
; NumVGPRsForWavesPerEU: 73
; AccumOffset: 76
; Occupancy: 6
; WaveLimiterHint : 1
; COMPUTE_PGM_RSRC2:SCRATCH_EN: 0
; COMPUTE_PGM_RSRC2:USER_SGPR: 2
; COMPUTE_PGM_RSRC2:TRAP_HANDLER: 0
; COMPUTE_PGM_RSRC2:TGID_X_EN: 1
; COMPUTE_PGM_RSRC2:TGID_Y_EN: 0
; COMPUTE_PGM_RSRC2:TGID_Z_EN: 0
; COMPUTE_PGM_RSRC2:TIDIG_COMP_CNT: 0
; COMPUTE_PGM_RSRC3_GFX90A:ACCUM_OFFSET: 18
; COMPUTE_PGM_RSRC3_GFX90A:TG_SPLIT: 0
	.text
	.p2alignl 6, 3212836864
	.fill 256, 4, 3212836864
	.type	__hip_cuid_7e739aa2b06b3bf4,@object ; @__hip_cuid_7e739aa2b06b3bf4
	.section	.bss,"aw",@nobits
	.globl	__hip_cuid_7e739aa2b06b3bf4
__hip_cuid_7e739aa2b06b3bf4:
	.byte	0                               ; 0x0
	.size	__hip_cuid_7e739aa2b06b3bf4, 1

	.ident	"AMD clang version 19.0.0git (https://github.com/RadeonOpenCompute/llvm-project roc-6.4.0 25133 c7fe45cf4b819c5991fe208aaa96edf142730f1d)"
	.section	".note.GNU-stack","",@progbits
	.addrsig
	.addrsig_sym __hip_cuid_7e739aa2b06b3bf4
	.amdgpu_metadata
---
amdhsa.kernels:
  - .agpr_count:     0
    .args:
      - .actual_access:  read_only
        .address_space:  global
        .offset:         0
        .size:           8
        .value_kind:     global_buffer
      - .address_space:  global
        .offset:         8
        .size:           8
        .value_kind:     global_buffer
      - .actual_access:  read_only
        .address_space:  global
        .offset:         16
        .size:           8
        .value_kind:     global_buffer
      - .actual_access:  read_only
        .address_space:  global
        .offset:         24
        .size:           8
        .value_kind:     global_buffer
      - .offset:         32
        .size:           8
        .value_kind:     by_value
      - .actual_access:  read_only
        .address_space:  global
        .offset:         40
        .size:           8
        .value_kind:     global_buffer
      - .actual_access:  read_only
        .address_space:  global
        .offset:         48
        .size:           8
        .value_kind:     global_buffer
      - .offset:         56
        .size:           4
        .value_kind:     by_value
      - .actual_access:  read_only
        .address_space:  global
        .offset:         64
        .size:           8
        .value_kind:     global_buffer
      - .actual_access:  read_only
        .address_space:  global
        .offset:         72
        .size:           8
        .value_kind:     global_buffer
      - .address_space:  global
        .offset:         80
        .size:           8
        .value_kind:     global_buffer
    .group_segment_fixed_size: 0
    .kernarg_segment_align: 8
    .kernarg_segment_size: 88
    .language:       OpenCL C
    .language_version:
      - 2
      - 0
    .max_flat_workgroup_size: 320
    .name:           fft_rtc_fwd_len200_factors_2_4_5_5_wgs_320_tpt_20_dim3_sp_ip_CI_sbcc_twdbase8_2step_dirReg_intrinsicReadWrite
    .private_segment_fixed_size: 0
    .sgpr_count:     32
    .sgpr_spill_count: 0
    .symbol:         fft_rtc_fwd_len200_factors_2_4_5_5_wgs_320_tpt_20_dim3_sp_ip_CI_sbcc_twdbase8_2step_dirReg_intrinsicReadWrite.kd
    .uniform_work_group_size: 1
    .uses_dynamic_stack: false
    .vgpr_count:     73
    .vgpr_spill_count: 0
    .wavefront_size: 64
amdhsa.target:   amdgcn-amd-amdhsa--gfx950
amdhsa.version:
  - 1
  - 2
...

	.end_amdgpu_metadata
